;; amdgpu-corpus repo=ROCm/rocFFT kind=compiled arch=gfx906 opt=O3
	.text
	.amdgcn_target "amdgcn-amd-amdhsa--gfx906"
	.amdhsa_code_object_version 6
	.protected	fft_rtc_back_len900_factors_10_10_3_3_wgs_180_tpt_90_halfLds_sp_op_CI_CI_unitstride_sbrr_C2R_dirReg ; -- Begin function fft_rtc_back_len900_factors_10_10_3_3_wgs_180_tpt_90_halfLds_sp_op_CI_CI_unitstride_sbrr_C2R_dirReg
	.globl	fft_rtc_back_len900_factors_10_10_3_3_wgs_180_tpt_90_halfLds_sp_op_CI_CI_unitstride_sbrr_C2R_dirReg
	.p2align	8
	.type	fft_rtc_back_len900_factors_10_10_3_3_wgs_180_tpt_90_halfLds_sp_op_CI_CI_unitstride_sbrr_C2R_dirReg,@function
fft_rtc_back_len900_factors_10_10_3_3_wgs_180_tpt_90_halfLds_sp_op_CI_CI_unitstride_sbrr_C2R_dirReg: ; @fft_rtc_back_len900_factors_10_10_3_3_wgs_180_tpt_90_halfLds_sp_op_CI_CI_unitstride_sbrr_C2R_dirReg
; %bb.0:
	s_load_dwordx4 s[8:11], s[4:5], 0x58
	s_load_dwordx4 s[12:15], s[4:5], 0x0
	;; [unrolled: 1-line block ×3, first 2 shown]
	v_mul_u32_u24_e32 v1, 0x2d9, v0
	v_lshrrev_b32_e32 v7, 16, v1
	v_mov_b32_e32 v3, 0
	s_waitcnt lgkmcnt(0)
	v_cmp_lt_u64_e64 s[0:1], s[14:15], 2
	v_mov_b32_e32 v1, 0
	v_lshl_add_u32 v5, s6, 1, v7
	v_mov_b32_e32 v6, v3
	s_and_b64 vcc, exec, s[0:1]
	v_mov_b32_e32 v2, 0
	s_cbranch_vccnz .LBB0_8
; %bb.1:
	s_load_dwordx2 s[0:1], s[4:5], 0x10
	s_add_u32 s2, s18, 8
	s_addc_u32 s3, s19, 0
	s_add_u32 s6, s16, 8
	v_mov_b32_e32 v1, 0
	s_addc_u32 s7, s17, 0
	v_mov_b32_e32 v2, 0
	s_waitcnt lgkmcnt(0)
	s_add_u32 s20, s0, 8
	v_mov_b32_e32 v17, v2
	s_addc_u32 s21, s1, 0
	s_mov_b64 s[22:23], 1
	v_mov_b32_e32 v16, v1
.LBB0_2:                                ; =>This Inner Loop Header: Depth=1
	s_load_dwordx2 s[24:25], s[20:21], 0x0
                                        ; implicit-def: $vgpr18_vgpr19
	s_waitcnt lgkmcnt(0)
	v_or_b32_e32 v4, s25, v6
	v_cmp_ne_u64_e32 vcc, 0, v[3:4]
	s_and_saveexec_b64 s[0:1], vcc
	s_xor_b64 s[26:27], exec, s[0:1]
	s_cbranch_execz .LBB0_4
; %bb.3:                                ;   in Loop: Header=BB0_2 Depth=1
	v_cvt_f32_u32_e32 v4, s24
	v_cvt_f32_u32_e32 v8, s25
	s_sub_u32 s0, 0, s24
	s_subb_u32 s1, 0, s25
	v_mac_f32_e32 v4, 0x4f800000, v8
	v_rcp_f32_e32 v4, v4
	v_mul_f32_e32 v4, 0x5f7ffffc, v4
	v_mul_f32_e32 v8, 0x2f800000, v4
	v_trunc_f32_e32 v8, v8
	v_mac_f32_e32 v4, 0xcf800000, v8
	v_cvt_u32_f32_e32 v8, v8
	v_cvt_u32_f32_e32 v4, v4
	v_mul_lo_u32 v9, s0, v8
	v_mul_hi_u32 v10, s0, v4
	v_mul_lo_u32 v12, s1, v4
	v_mul_lo_u32 v11, s0, v4
	v_add_u32_e32 v9, v10, v9
	v_add_u32_e32 v9, v9, v12
	v_mul_hi_u32 v10, v4, v11
	v_mul_lo_u32 v12, v4, v9
	v_mul_hi_u32 v14, v4, v9
	v_mul_hi_u32 v13, v8, v11
	v_mul_lo_u32 v11, v8, v11
	v_mul_hi_u32 v15, v8, v9
	v_add_co_u32_e32 v10, vcc, v10, v12
	v_addc_co_u32_e32 v12, vcc, 0, v14, vcc
	v_mul_lo_u32 v9, v8, v9
	v_add_co_u32_e32 v10, vcc, v10, v11
	v_addc_co_u32_e32 v10, vcc, v12, v13, vcc
	v_addc_co_u32_e32 v11, vcc, 0, v15, vcc
	v_add_co_u32_e32 v9, vcc, v10, v9
	v_addc_co_u32_e32 v10, vcc, 0, v11, vcc
	v_add_co_u32_e32 v4, vcc, v4, v9
	v_addc_co_u32_e32 v8, vcc, v8, v10, vcc
	v_mul_lo_u32 v9, s0, v8
	v_mul_hi_u32 v10, s0, v4
	v_mul_lo_u32 v11, s1, v4
	v_mul_lo_u32 v12, s0, v4
	v_add_u32_e32 v9, v10, v9
	v_add_u32_e32 v9, v9, v11
	v_mul_lo_u32 v13, v4, v9
	v_mul_hi_u32 v14, v4, v12
	v_mul_hi_u32 v15, v4, v9
	;; [unrolled: 1-line block ×3, first 2 shown]
	v_mul_lo_u32 v12, v8, v12
	v_mul_hi_u32 v10, v8, v9
	v_add_co_u32_e32 v13, vcc, v14, v13
	v_addc_co_u32_e32 v14, vcc, 0, v15, vcc
	v_mul_lo_u32 v9, v8, v9
	v_add_co_u32_e32 v12, vcc, v13, v12
	v_addc_co_u32_e32 v11, vcc, v14, v11, vcc
	v_addc_co_u32_e32 v10, vcc, 0, v10, vcc
	v_add_co_u32_e32 v9, vcc, v11, v9
	v_addc_co_u32_e32 v10, vcc, 0, v10, vcc
	v_add_co_u32_e32 v4, vcc, v4, v9
	v_addc_co_u32_e32 v10, vcc, v8, v10, vcc
	v_mad_u64_u32 v[8:9], s[0:1], v5, v10, 0
	v_mul_hi_u32 v11, v5, v4
	v_add_co_u32_e32 v12, vcc, v11, v8
	v_addc_co_u32_e32 v13, vcc, 0, v9, vcc
	v_mad_u64_u32 v[8:9], s[0:1], v6, v4, 0
	v_mad_u64_u32 v[10:11], s[0:1], v6, v10, 0
	v_add_co_u32_e32 v4, vcc, v12, v8
	v_addc_co_u32_e32 v4, vcc, v13, v9, vcc
	v_addc_co_u32_e32 v8, vcc, 0, v11, vcc
	v_add_co_u32_e32 v4, vcc, v4, v10
	v_addc_co_u32_e32 v10, vcc, 0, v8, vcc
	v_mul_lo_u32 v11, s25, v4
	v_mul_lo_u32 v12, s24, v10
	v_mad_u64_u32 v[8:9], s[0:1], s24, v4, 0
	v_add3_u32 v9, v9, v12, v11
	v_sub_u32_e32 v11, v6, v9
	v_mov_b32_e32 v12, s25
	v_sub_co_u32_e32 v8, vcc, v5, v8
	v_subb_co_u32_e64 v11, s[0:1], v11, v12, vcc
	v_subrev_co_u32_e64 v12, s[0:1], s24, v8
	v_subbrev_co_u32_e64 v11, s[0:1], 0, v11, s[0:1]
	v_cmp_le_u32_e64 s[0:1], s25, v11
	v_cndmask_b32_e64 v13, 0, -1, s[0:1]
	v_cmp_le_u32_e64 s[0:1], s24, v12
	v_cndmask_b32_e64 v12, 0, -1, s[0:1]
	v_cmp_eq_u32_e64 s[0:1], s25, v11
	v_cndmask_b32_e64 v11, v13, v12, s[0:1]
	v_add_co_u32_e64 v12, s[0:1], 2, v4
	v_addc_co_u32_e64 v13, s[0:1], 0, v10, s[0:1]
	v_add_co_u32_e64 v14, s[0:1], 1, v4
	v_addc_co_u32_e64 v15, s[0:1], 0, v10, s[0:1]
	v_subb_co_u32_e32 v9, vcc, v6, v9, vcc
	v_cmp_ne_u32_e64 s[0:1], 0, v11
	v_cmp_le_u32_e32 vcc, s25, v9
	v_cndmask_b32_e64 v11, v15, v13, s[0:1]
	v_cndmask_b32_e64 v13, 0, -1, vcc
	v_cmp_le_u32_e32 vcc, s24, v8
	v_cndmask_b32_e64 v8, 0, -1, vcc
	v_cmp_eq_u32_e32 vcc, s25, v9
	v_cndmask_b32_e32 v8, v13, v8, vcc
	v_cmp_ne_u32_e32 vcc, 0, v8
	v_cndmask_b32_e64 v8, v14, v12, s[0:1]
	v_cndmask_b32_e32 v19, v10, v11, vcc
	v_cndmask_b32_e32 v18, v4, v8, vcc
.LBB0_4:                                ;   in Loop: Header=BB0_2 Depth=1
	s_andn2_saveexec_b64 s[0:1], s[26:27]
	s_cbranch_execz .LBB0_6
; %bb.5:                                ;   in Loop: Header=BB0_2 Depth=1
	v_cvt_f32_u32_e32 v4, s24
	s_sub_i32 s26, 0, s24
	v_mov_b32_e32 v19, v3
	v_rcp_iflag_f32_e32 v4, v4
	v_mul_f32_e32 v4, 0x4f7ffffe, v4
	v_cvt_u32_f32_e32 v4, v4
	v_mul_lo_u32 v8, s26, v4
	v_mul_hi_u32 v8, v4, v8
	v_add_u32_e32 v4, v4, v8
	v_mul_hi_u32 v4, v5, v4
	v_mul_lo_u32 v8, v4, s24
	v_add_u32_e32 v9, 1, v4
	v_sub_u32_e32 v8, v5, v8
	v_subrev_u32_e32 v10, s24, v8
	v_cmp_le_u32_e32 vcc, s24, v8
	v_cndmask_b32_e32 v8, v8, v10, vcc
	v_cndmask_b32_e32 v4, v4, v9, vcc
	v_add_u32_e32 v9, 1, v4
	v_cmp_le_u32_e32 vcc, s24, v8
	v_cndmask_b32_e32 v18, v4, v9, vcc
.LBB0_6:                                ;   in Loop: Header=BB0_2 Depth=1
	s_or_b64 exec, exec, s[0:1]
	v_mul_lo_u32 v4, v19, s24
	v_mul_lo_u32 v10, v18, s25
	v_mad_u64_u32 v[8:9], s[0:1], v18, s24, 0
	s_load_dwordx2 s[0:1], s[6:7], 0x0
	s_load_dwordx2 s[24:25], s[2:3], 0x0
	v_add3_u32 v4, v9, v10, v4
	v_sub_co_u32_e32 v5, vcc, v5, v8
	v_subb_co_u32_e32 v4, vcc, v6, v4, vcc
	s_waitcnt lgkmcnt(0)
	v_mul_lo_u32 v6, s0, v4
	v_mul_lo_u32 v8, s1, v5
	v_mad_u64_u32 v[1:2], s[0:1], s0, v5, v[1:2]
	v_mul_lo_u32 v4, s24, v4
	v_mul_lo_u32 v9, s25, v5
	v_mad_u64_u32 v[16:17], s[0:1], s24, v5, v[16:17]
	s_add_u32 s22, s22, 1
	s_addc_u32 s23, s23, 0
	s_add_u32 s2, s2, 8
	v_add3_u32 v17, v9, v17, v4
	s_addc_u32 s3, s3, 0
	v_mov_b32_e32 v4, s14
	s_add_u32 s6, s6, 8
	v_mov_b32_e32 v5, s15
	s_addc_u32 s7, s7, 0
	v_cmp_ge_u64_e32 vcc, s[22:23], v[4:5]
	s_add_u32 s20, s20, 8
	v_add3_u32 v2, v8, v2, v6
	s_addc_u32 s21, s21, 0
	s_cbranch_vccnz .LBB0_9
; %bb.7:                                ;   in Loop: Header=BB0_2 Depth=1
	v_mov_b32_e32 v5, v18
	v_mov_b32_e32 v6, v19
	s_branch .LBB0_2
.LBB0_8:
	v_mov_b32_e32 v17, v2
	v_mov_b32_e32 v19, v6
	;; [unrolled: 1-line block ×4, first 2 shown]
.LBB0_9:
	s_load_dwordx2 s[2:3], s[4:5], 0x28
	s_lshl_b64 s[6:7], s[14:15], 3
	s_add_u32 s4, s18, s6
	v_and_b32_e32 v3, 1, v7
	s_addc_u32 s5, s19, s7
	s_waitcnt lgkmcnt(0)
	v_cmp_gt_u64_e64 s[0:1], s[2:3], v[18:19]
	v_cmp_le_u64_e64 s[2:3], s[2:3], v[18:19]
	v_cmp_eq_u32_e32 vcc, 1, v3
	v_mov_b32_e32 v3, 0x385
                                        ; implicit-def: $vgpr20
	s_and_saveexec_b64 s[14:15], s[2:3]
	s_xor_b64 s[2:3], exec, s[14:15]
; %bb.10:
	s_mov_b32 s14, 0x2d82d83
	v_mul_hi_u32 v1, v0, s14
	v_mul_u32_u24_e32 v1, 0x5a, v1
	v_sub_u32_e32 v20, v0, v1
                                        ; implicit-def: $vgpr0
                                        ; implicit-def: $vgpr1_vgpr2
; %bb.11:
	s_or_saveexec_b64 s[2:3], s[2:3]
	s_load_dwordx2 s[4:5], s[4:5], 0x0
	v_cndmask_b32_e32 v3, 0, v3, vcc
	v_lshlrev_b32_e32 v32, 3, v3
	s_xor_b64 exec, exec, s[2:3]
	s_cbranch_execz .LBB0_15
; %bb.12:
	s_add_u32 s6, s16, s6
	s_addc_u32 s7, s17, s7
	s_load_dwordx2 s[6:7], s[6:7], 0x0
	s_mov_b32 s14, 0x2d82d83
	v_mul_hi_u32 v6, v0, s14
	v_lshlrev_b64 v[1:2], 3, v[1:2]
	s_waitcnt lgkmcnt(0)
	v_mul_lo_u32 v7, s7, v18
	v_mul_lo_u32 v8, s6, v19
	v_mad_u64_u32 v[4:5], s[6:7], s6, v18, 0
	v_mul_u32_u24_e32 v6, 0x5a, v6
	v_sub_u32_e32 v20, v0, v6
	v_add3_u32 v5, v5, v8, v7
	v_lshlrev_b64 v[4:5], 3, v[4:5]
	v_mov_b32_e32 v0, s9
	v_add_co_u32_e32 v4, vcc, s8, v4
	v_addc_co_u32_e32 v0, vcc, v0, v5, vcc
	v_add_co_u32_e32 v1, vcc, v4, v1
	v_addc_co_u32_e32 v0, vcc, v0, v2, vcc
	v_lshlrev_b32_e32 v2, 3, v20
	v_add_co_u32_e32 v4, vcc, v1, v2
	v_addc_co_u32_e32 v5, vcc, 0, v0, vcc
	s_movk_i32 s6, 0x1000
	v_add_co_u32_e32 v8, vcc, s6, v4
	global_load_dwordx2 v[6:7], v[4:5], off offset:2160
	v_addc_co_u32_e32 v9, vcc, 0, v5, vcc
	global_load_dwordx2 v[10:11], v[4:5], off offset:2880
	global_load_dwordx2 v[12:13], v[4:5], off offset:3600
	;; [unrolled: 1-line block ×5, first 2 shown]
	global_load_dwordx2 v[25:26], v[4:5], off
	global_load_dwordx2 v[27:28], v[4:5], off offset:720
	global_load_dwordx2 v[29:30], v[8:9], off offset:1664
	;; [unrolled: 1-line block ×3, first 2 shown]
	s_movk_i32 s6, 0x59
	v_add3_u32 v2, 0, v32, v2
	v_add_u32_e32 v4, 0x400, v2
	v_cmp_eq_u32_e32 vcc, s6, v20
	v_add_u32_e32 v5, 0x800, v2
	v_add_u32_e32 v8, 0x1000, v2
	;; [unrolled: 1-line block ×3, first 2 shown]
	s_waitcnt vmcnt(4)
	ds_write2_b64 v4, v[23:24], v[6:7] offset0:52 offset1:142
	ds_write2_b64 v5, v[10:11], v[12:13] offset0:104 offset1:194
	s_waitcnt vmcnt(2)
	ds_write2_b64 v2, v[25:26], v[27:28] offset1:90
	ds_write2_b64 v8, v[14:15], v[21:22] offset0:28 offset1:118
	s_waitcnt vmcnt(0)
	ds_write2_b64 v9, v[29:30], v[33:34] offset0:80 offset1:170
	s_and_saveexec_b64 s[6:7], vcc
	s_cbranch_execz .LBB0_14
; %bb.13:
	v_add_co_u32_e32 v4, vcc, 0x1000, v1
	v_addc_co_u32_e32 v5, vcc, 0, v0, vcc
	global_load_dwordx2 v[0:1], v[4:5], off offset:3104
	v_mov_b32_e32 v20, 0x59
	s_waitcnt vmcnt(0)
	ds_write_b64 v2, v[0:1] offset:6488
.LBB0_14:
	s_or_b64 exec, exec, s[6:7]
.LBB0_15:
	s_or_b64 exec, exec, s[2:3]
	v_lshl_add_u32 v31, v3, 3, 0
	v_lshlrev_b32_e32 v0, 3, v20
	v_add_u32_e32 v34, v31, v0
	s_waitcnt lgkmcnt(0)
	s_barrier
	v_sub_u32_e32 v4, v31, v0
	ds_read_b32 v5, v34
	ds_read_b32 v6, v4 offset:7200
	s_add_u32 s6, s12, 0x1bd0
	s_addc_u32 s7, s13, 0
	v_cmp_ne_u32_e32 vcc, 0, v20
                                        ; implicit-def: $vgpr2_vgpr3
	s_waitcnt lgkmcnt(0)
	v_add_f32_e32 v0, v6, v5
	v_sub_f32_e32 v1, v5, v6
	s_and_saveexec_b64 s[2:3], vcc
	s_xor_b64 s[2:3], exec, s[2:3]
	s_cbranch_execz .LBB0_17
; %bb.16:
	v_mov_b32_e32 v21, 0
	v_lshlrev_b64 v[0:1], 3, v[20:21]
	v_mov_b32_e32 v2, s7
	v_add_co_u32_e32 v0, vcc, s6, v0
	v_addc_co_u32_e32 v1, vcc, v2, v1, vcc
	global_load_dwordx2 v[2:3], v[0:1], off
	ds_read_b32 v0, v4 offset:7204
	ds_read_b32 v1, v34 offset:4
	v_add_f32_e32 v7, v6, v5
	v_sub_f32_e32 v8, v5, v6
	s_waitcnt lgkmcnt(0)
	v_add_f32_e32 v9, v0, v1
	v_sub_f32_e32 v0, v1, v0
	s_waitcnt vmcnt(0)
	v_fma_f32 v10, v8, v3, v7
	v_fma_f32 v1, v9, v3, v0
	v_fma_f32 v5, -v8, v3, v7
	v_fma_f32 v6, v9, v3, -v0
	v_fma_f32 v0, -v2, v9, v10
	v_fmac_f32_e32 v1, v8, v2
	v_fmac_f32_e32 v5, v2, v9
	;; [unrolled: 1-line block ×3, first 2 shown]
	v_mov_b32_e32 v2, v20
	ds_write_b64 v4, v[5:6] offset:7200
	v_mov_b32_e32 v3, v21
.LBB0_17:
	s_andn2_saveexec_b64 s[2:3], s[2:3]
	s_cbranch_execz .LBB0_19
; %bb.18:
	ds_read_b64 v[2:3], v31 offset:3600
	s_waitcnt lgkmcnt(0)
	v_add_f32_e32 v5, v2, v2
	v_mul_f32_e32 v6, -2.0, v3
	v_mov_b32_e32 v2, 0
	v_mov_b32_e32 v3, 0
	ds_write_b64 v31, v[5:6] offset:3600
.LBB0_19:
	s_or_b64 exec, exec, s[2:3]
	v_lshlrev_b64 v[2:3], 3, v[2:3]
	v_mov_b32_e32 v5, s7
	v_add_co_u32_e32 v2, vcc, s6, v2
	v_addc_co_u32_e32 v3, vcc, v5, v3, vcc
	global_load_dwordx2 v[5:6], v[2:3], off offset:720
	global_load_dwordx2 v[7:8], v[2:3], off offset:1440
	;; [unrolled: 1-line block ×4, first 2 shown]
	ds_write_b64 v34, v[0:1]
	ds_read_b64 v[0:1], v34 offset:720
	ds_read_b64 v[2:3], v4 offset:6480
	s_movk_i32 s2, 0x48
	v_cmp_gt_u32_e32 vcc, 30, v20
	s_waitcnt lgkmcnt(0)
	v_add_f32_e32 v13, v0, v2
	v_add_f32_e32 v14, v3, v1
	v_sub_f32_e32 v15, v0, v2
	v_sub_f32_e32 v2, v1, v3
	s_waitcnt vmcnt(3)
	v_fma_f32 v21, v15, v6, v13
	v_fma_f32 v3, v14, v6, v2
	v_fma_f32 v0, -v15, v6, v13
	v_fma_f32 v1, v14, v6, -v2
	v_fma_f32 v2, -v5, v14, v21
	v_fmac_f32_e32 v3, v15, v5
	v_fmac_f32_e32 v0, v5, v14
	;; [unrolled: 1-line block ×3, first 2 shown]
	ds_write_b64 v34, v[2:3] offset:720
	ds_write_b64 v4, v[0:1] offset:6480
	ds_read_b64 v[0:1], v34 offset:1440
	ds_read_b64 v[2:3], v4 offset:5760
	v_lshl_add_u32 v15, v20, 3, 0
	v_add_u32_e32 v33, v15, v32
	s_waitcnt lgkmcnt(0)
	v_add_f32_e32 v5, v0, v2
	v_add_f32_e32 v6, v3, v1
	v_sub_f32_e32 v13, v0, v2
	v_sub_f32_e32 v0, v1, v3
	s_waitcnt vmcnt(2)
	v_fma_f32 v14, v13, v8, v5
	v_fma_f32 v1, v6, v8, v0
	v_fma_f32 v2, -v13, v8, v5
	v_fma_f32 v3, v6, v8, -v0
	v_fma_f32 v0, -v7, v6, v14
	v_fmac_f32_e32 v1, v13, v7
	v_fmac_f32_e32 v2, v7, v6
	;; [unrolled: 1-line block ×3, first 2 shown]
	ds_write_b64 v34, v[0:1] offset:1440
	ds_write_b64 v4, v[2:3] offset:5760
	ds_read_b64 v[0:1], v34 offset:2160
	ds_read_b64 v[2:3], v4 offset:5040
	s_waitcnt lgkmcnt(0)
	v_add_f32_e32 v5, v0, v2
	v_add_f32_e32 v6, v3, v1
	v_sub_f32_e32 v7, v0, v2
	v_sub_f32_e32 v0, v1, v3
	s_waitcnt vmcnt(1)
	v_fma_f32 v8, v7, v10, v5
	v_fma_f32 v1, v6, v10, v0
	v_fma_f32 v2, -v7, v10, v5
	v_fma_f32 v3, v6, v10, -v0
	v_fma_f32 v0, -v9, v6, v8
	v_fmac_f32_e32 v1, v7, v9
	v_fmac_f32_e32 v2, v9, v6
	v_fmac_f32_e32 v3, v7, v9
	ds_write_b64 v34, v[0:1] offset:2160
	ds_write_b64 v4, v[2:3] offset:5040
	ds_read_b64 v[5:6], v34 offset:2880
	ds_read_b64 v[7:8], v4 offset:4320
	v_add_u32_e32 v0, 0xc00, v33
	v_add_u32_e32 v2, 0x1000, v33
	;; [unrolled: 1-line block ×3, first 2 shown]
	s_waitcnt lgkmcnt(0)
	v_add_f32_e32 v3, v5, v7
	v_add_f32_e32 v9, v8, v6
	v_sub_f32_e32 v10, v5, v7
	v_sub_f32_e32 v5, v6, v8
	s_waitcnt vmcnt(0)
	v_fma_f32 v13, v10, v12, v3
	v_fma_f32 v6, v9, v12, v5
	v_fma_f32 v7, -v10, v12, v3
	v_fma_f32 v8, v9, v12, -v5
	v_fma_f32 v5, -v11, v9, v13
	v_fmac_f32_e32 v6, v10, v11
	v_fmac_f32_e32 v7, v11, v9
	v_fmac_f32_e32 v8, v10, v11
	ds_write_b64 v34, v[5:6] offset:2880
	ds_write_b64 v4, v[7:8] offset:4320
	s_waitcnt lgkmcnt(0)
	s_barrier
	s_barrier
	ds_read2_b64 v[3:6], v0 offset0:66 offset1:156
	ds_read2_b64 v[7:10], v2 offset0:118 offset1:208
	;; [unrolled: 1-line block ×3, first 2 shown]
	ds_read_b64 v[25:26], v33 offset:6480
	ds_read2_b64 v[21:24], v33 offset0:90 offset1:180
	ds_read_b64 v[27:28], v34
	s_waitcnt lgkmcnt(4)
	v_add_f32_e32 v29, v3, v7
	v_add_f32_e32 v35, v4, v8
	s_waitcnt lgkmcnt(2)
	v_add_f32_e32 v30, v11, v25
	s_waitcnt lgkmcnt(1)
	;; [unrolled: 2-line block ×3, first 2 shown]
	v_add_f32_e32 v42, v28, v24
	v_add_f32_e32 v46, v22, v12
	;; [unrolled: 1-line block ×4, first 2 shown]
	v_sub_f32_e32 v38, v24, v10
	v_sub_f32_e32 v43, v24, v14
	v_add_f32_e32 v44, v24, v10
	v_sub_f32_e32 v24, v14, v24
	v_sub_f32_e32 v48, v14, v6
	v_add_f32_e32 v49, v14, v6
	v_add_f32_e32 v14, v42, v14
	;; [unrolled: 1-line block ×4, first 2 shown]
	v_sub_f32_e32 v39, v23, v13
	v_sub_f32_e32 v41, v13, v23
	v_add_f32_e32 v47, v13, v5
	v_sub_f32_e32 v50, v13, v5
	v_sub_f32_e32 v51, v12, v26
	v_fma_f32 v29, -0.5, v29, v21
	v_fma_f32 v21, -0.5, v30, v21
	;; [unrolled: 1-line block ×4, first 2 shown]
	v_add_f32_e32 v13, v37, v13
	v_sub_f32_e32 v35, v11, v3
	v_sub_f32_e32 v36, v3, v11
	;; [unrolled: 1-line block ×4, first 2 shown]
	v_add_f32_e32 v14, v14, v6
	v_sub_f32_e32 v54, v4, v8
	v_sub_f32_e32 v55, v3, v7
	v_add_f32_e32 v3, v42, v7
	v_add_f32_e32 v4, v45, v8
	v_sub_f32_e32 v11, v11, v25
	v_add_f32_e32 v13, v13, v5
	v_sub_f32_e32 v46, v9, v5
	v_sub_f32_e32 v52, v5, v9
	;; [unrolled: 1-line block ×4, first 2 shown]
	v_add_f32_e32 v10, v14, v10
	v_sub_f32_e32 v6, v25, v7
	v_sub_f32_e32 v7, v7, v25
	v_add_f32_e32 v14, v3, v25
	v_add_f32_e32 v25, v4, v26
	v_mov_b32_e32 v3, v29
	v_mov_b32_e32 v4, v30
	v_add_f32_e32 v40, v23, v9
	v_sub_f32_e32 v23, v23, v9
	v_add_f32_e32 v9, v13, v9
	v_sub_f32_e32 v13, v26, v8
	v_fmac_f32_e32 v3, 0xbf737871, v51
	v_fmac_f32_e32 v4, 0x3f737871, v11
	v_fma_f32 v45, -0.5, v47, v27
	v_fma_f32 v47, -0.5, v49, v28
	v_sub_f32_e32 v8, v8, v26
	v_add_f32_e32 v26, v39, v46
	v_add_f32_e32 v42, v35, v6
	;; [unrolled: 1-line block ×3, first 2 shown]
	v_fmac_f32_e32 v3, 0xbf167918, v54
	v_fmac_f32_e32 v4, 0x3f167918, v55
	v_mov_b32_e32 v46, v45
	v_mov_b32_e32 v49, v47
	v_fmac_f32_e32 v3, 0x3e9e377a, v42
	v_fmac_f32_e32 v4, 0x3e9e377a, v13
	;; [unrolled: 1-line block ×4, first 2 shown]
	v_add_f32_e32 v39, v43, v5
	v_mul_f32_e32 v37, 0xbf167918, v4
	v_mul_f32_e32 v43, 0x3f167918, v3
	v_fmac_f32_e32 v46, 0xbf167918, v48
	v_fmac_f32_e32 v49, 0x3f167918, v50
	v_fma_f32 v27, -0.5, v40, v27
	v_fmac_f32_e32 v37, 0x3f4f1bbd, v3
	v_fmac_f32_e32 v43, 0x3f4f1bbd, v4
	v_fmac_f32_e32 v46, 0x3e9e377a, v26
	v_fmac_f32_e32 v49, 0x3e9e377a, v39
	v_mad_u32_u24 v35, v20, s2, v15
	v_mov_b32_e32 v40, v27
	v_add_f32_e32 v3, v9, v14
	v_add_f32_e32 v4, v10, v25
	;; [unrolled: 1-line block ×4, first 2 shown]
	v_add_u32_e32 v15, v35, v32
	v_fmac_f32_e32 v40, 0x3f737871, v48
	v_fmac_f32_e32 v27, 0xbf737871, v48
	s_barrier
	ds_write2_b64 v15, v[3:4], v[5:6] offset1:1
	v_add_f32_e32 v3, v41, v52
	v_fmac_f32_e32 v40, 0xbf167918, v38
	v_fmac_f32_e32 v27, 0x3f167918, v38
	v_fmac_f32_e32 v28, -0.5, v44
	v_fmac_f32_e32 v40, 0x3e9e377a, v3
	v_fmac_f32_e32 v27, 0x3e9e377a, v3
	v_add_f32_e32 v3, v24, v53
	v_mov_b32_e32 v24, v28
	v_fmac_f32_e32 v24, 0xbf737871, v50
	v_fmac_f32_e32 v28, 0x3f737871, v50
	v_mov_b32_e32 v4, v21
	v_fmac_f32_e32 v24, 0x3f167918, v23
	v_fmac_f32_e32 v28, 0xbf167918, v23
	;; [unrolled: 1-line block ×4, first 2 shown]
	v_mov_b32_e32 v5, v22
	v_fmac_f32_e32 v24, 0x3e9e377a, v3
	v_fmac_f32_e32 v28, 0x3e9e377a, v3
	v_add_f32_e32 v3, v36, v7
	v_fmac_f32_e32 v4, 0xbf167918, v51
	v_fmac_f32_e32 v21, 0x3f167918, v51
	;; [unrolled: 1-line block ×6, first 2 shown]
	v_add_f32_e32 v3, v12, v8
	v_fmac_f32_e32 v5, 0x3f167918, v11
	v_fmac_f32_e32 v22, 0xbf167918, v11
	;; [unrolled: 1-line block ×4, first 2 shown]
	v_mul_f32_e32 v7, 0xbf737871, v5
	v_mul_f32_e32 v8, 0x3e9e377a, v5
	;; [unrolled: 1-line block ×4, first 2 shown]
	v_fmac_f32_e32 v30, 0xbf737871, v11
	v_fmac_f32_e32 v7, 0x3e9e377a, v4
	;; [unrolled: 1-line block ×7, first 2 shown]
	v_add_f32_e32 v3, v40, v7
	v_add_f32_e32 v4, v24, v8
	v_add_f32_e32 v5, v27, v12
	v_add_f32_e32 v6, v28, v22
	v_fmac_f32_e32 v45, 0x3f737871, v38
	v_fmac_f32_e32 v47, 0xbf737871, v23
	;; [unrolled: 1-line block ×4, first 2 shown]
	ds_write2_b64 v15, v[3:4], v[5:6] offset0:2 offset1:3
	v_sub_f32_e32 v3, v9, v14
	v_sub_f32_e32 v4, v10, v25
	v_fmac_f32_e32 v45, 0x3f167918, v48
	v_fmac_f32_e32 v47, 0xbf167918, v50
	;; [unrolled: 1-line block ×3, first 2 shown]
	v_mul_f32_e32 v9, 0xbf167918, v30
	v_mul_f32_e32 v10, 0xbf4f1bbd, v30
	v_fmac_f32_e32 v45, 0x3e9e377a, v26
	v_fmac_f32_e32 v47, 0x3e9e377a, v39
	v_fmac_f32_e32 v9, 0xbf4f1bbd, v29
	v_fmac_f32_e32 v10, 0x3f167918, v29
	v_add_f32_e32 v5, v45, v9
	v_add_f32_e32 v6, v47, v10
	ds_write2_b64 v15, v[5:6], v[3:4] offset0:4 offset1:5
	v_sub_f32_e32 v3, v27, v12
	v_sub_f32_e32 v5, v46, v37
	;; [unrolled: 1-line block ×5, first 2 shown]
	s_movk_i32 s2, 0xcd
	v_sub_f32_e32 v4, v28, v22
	v_sub_f32_e32 v9, v45, v9
	;; [unrolled: 1-line block ×3, first 2 shown]
	ds_write2_b64 v15, v[5:6], v[7:8] offset0:6 offset1:7
	ds_write2_b64 v15, v[3:4], v[9:10] offset0:8 offset1:9
	v_mul_lo_u16_sdwa v3, v20, s2 dst_sel:DWORD dst_unused:UNUSED_PAD src0_sel:BYTE_0 src1_sel:DWORD
	v_lshrrev_b16_e32 v15, 11, v3
	v_mul_lo_u16_e32 v3, 10, v15
	v_sub_u16_e32 v40, v20, v3
	v_mov_b32_e32 v3, 9
	v_mul_u32_u24_sdwa v3, v40, v3 dst_sel:DWORD dst_unused:UNUSED_PAD src0_sel:BYTE_0 src1_sel:DWORD
	v_lshlrev_b32_e32 v25, 3, v3
	s_waitcnt lgkmcnt(0)
	s_barrier
	global_load_dwordx4 v[3:6], v25, s[12:13]
	global_load_dwordx4 v[7:10], v25, s[12:13] offset:16
	global_load_dwordx4 v[11:14], v25, s[12:13] offset:32
	;; [unrolled: 1-line block ×3, first 2 shown]
	global_load_dwordx2 v[29:30], v25, s[12:13] offset:64
	ds_read2_b64 v[25:28], v33 offset0:90 offset1:180
	ds_read2_b64 v[36:39], v1 offset0:14 offset1:104
	s_movk_i32 s2, 0x320
	s_waitcnt vmcnt(4) lgkmcnt(1)
	v_mul_f32_e32 v41, v4, v26
	v_mul_f32_e32 v4, v4, v25
	v_fmac_f32_e32 v41, v3, v25
	v_fma_f32 v25, v3, v26, -v4
	v_mul_f32_e32 v26, v6, v28
	v_mul_f32_e32 v3, v6, v27
	v_fmac_f32_e32 v26, v5, v27
	v_fma_f32 v27, v5, v28, -v3
	s_waitcnt vmcnt(3) lgkmcnt(0)
	v_mul_f32_e32 v28, v8, v37
	v_mul_f32_e32 v3, v8, v36
	v_fmac_f32_e32 v28, v7, v36
	v_fma_f32 v36, v7, v37, -v3
	ds_read2_b64 v[3:6], v0 offset0:66 offset1:156
	v_mul_f32_e32 v37, v10, v39
	v_mul_f32_e32 v7, v10, v38
	v_fmac_f32_e32 v37, v9, v38
	v_fma_f32 v38, v9, v39, -v7
	ds_read2_b64 v[7:10], v2 offset0:118 offset1:208
	s_waitcnt vmcnt(2) lgkmcnt(1)
	v_mul_f32_e32 v39, v12, v4
	v_fmac_f32_e32 v39, v11, v3
	v_mul_f32_e32 v3, v12, v3
	v_mul_f32_e32 v12, v6, v14
	;; [unrolled: 1-line block ×3, first 2 shown]
	v_fmac_f32_e32 v12, v5, v13
	v_fma_f32 v13, v6, v13, -v2
	s_waitcnt vmcnt(1) lgkmcnt(0)
	v_mul_f32_e32 v2, v7, v22
	v_fma_f32 v11, v11, v4, -v3
	v_mul_f32_e32 v14, v8, v22
	v_fma_f32 v8, v8, v21, -v2
	ds_read_b64 v[2:3], v33 offset:6480
	v_fmac_f32_e32 v14, v7, v21
	v_mul_f32_e32 v21, v10, v24
	v_mul_f32_e32 v4, v9, v24
	v_fmac_f32_e32 v21, v9, v23
	v_fma_f32 v9, v10, v23, -v4
	ds_read_b64 v[4:5], v34
	s_waitcnt vmcnt(0) lgkmcnt(1)
	v_mul_f32_e32 v10, v3, v30
	v_fmac_f32_e32 v10, v2, v29
	v_mul_f32_e32 v2, v2, v30
	v_fma_f32 v22, v3, v29, -v2
	v_sub_f32_e32 v2, v26, v37
	v_sub_f32_e32 v3, v21, v12
	v_add_f32_e32 v23, v2, v3
	v_sub_f32_e32 v2, v27, v38
	v_sub_f32_e32 v3, v9, v13
	v_add_f32_e32 v24, v2, v3
	;; [unrolled: 3-line block ×4, first 2 shown]
	v_add_f32_e32 v3, v11, v8
	v_add_f32_e32 v2, v39, v14
	v_fma_f32 v45, -0.5, v3, v25
	v_fma_f32 v42, -0.5, v2, v41
	v_sub_f32_e32 v46, v28, v10
	v_mov_b32_e32 v3, v45
	v_sub_f32_e32 v43, v36, v22
	v_mov_b32_e32 v2, v42
	v_fmac_f32_e32 v3, 0x3f737871, v46
	v_sub_f32_e32 v47, v39, v14
	v_fmac_f32_e32 v2, 0xbf737871, v43
	v_sub_f32_e32 v44, v11, v8
	v_fmac_f32_e32 v3, 0x3f167918, v47
	v_fmac_f32_e32 v2, 0xbf167918, v44
	;; [unrolled: 1-line block ×4, first 2 shown]
	v_mul_f32_e32 v48, 0xbf167918, v3
	v_mul_f32_e32 v49, 0x3f4f1bbd, v3
	v_fmac_f32_e32 v48, 0x3f4f1bbd, v2
	v_fmac_f32_e32 v49, 0x3f167918, v2
	v_mov_b32_e32 v2, 3
	v_lshlrev_b32_sdwa v2, v2, v40 dst_sel:DWORD dst_unused:UNUSED_PAD src0_sel:DWORD src1_sel:BYTE_0
	v_mad_u32_u24 v3, v15, s2, 0
	v_add3_u32 v15, v3, v2, v32
	s_waitcnt lgkmcnt(0)
	v_add_f32_e32 v2, v4, v26
	v_add_f32_e32 v2, v2, v37
	;; [unrolled: 1-line block ×5, first 2 shown]
	v_fma_f32 v50, -0.5, v2, v4
	v_add_f32_e32 v2, v5, v27
	v_add_f32_e32 v2, v2, v38
	;; [unrolled: 1-line block ×5, first 2 shown]
	v_fma_f32 v55, -0.5, v2, v5
	v_add_f32_e32 v2, v41, v28
	v_add_f32_e32 v2, v2, v39
	v_add_f32_e32 v2, v2, v14
	v_sub_f32_e32 v51, v27, v9
	v_mov_b32_e32 v52, v50
	v_sub_f32_e32 v56, v26, v21
	v_mov_b32_e32 v57, v55
	v_add_f32_e32 v59, v2, v10
	v_add_f32_e32 v2, v25, v36
	v_fmac_f32_e32 v52, 0xbf737871, v51
	v_sub_f32_e32 v53, v38, v13
	v_fmac_f32_e32 v57, 0x3f737871, v56
	v_sub_f32_e32 v58, v37, v12
	v_add_f32_e32 v2, v2, v11
	v_fmac_f32_e32 v52, 0xbf167918, v53
	v_fmac_f32_e32 v57, 0x3f167918, v58
	v_add_f32_e32 v2, v2, v8
	v_fmac_f32_e32 v52, 0x3e9e377a, v23
	v_fmac_f32_e32 v57, 0x3e9e377a, v24
	v_add_f32_e32 v60, v2, v22
	v_add_f32_e32 v2, v40, v59
	;; [unrolled: 1-line block ×5, first 2 shown]
	s_barrier
	ds_write2_b64 v15, v[2:3], v[6:7] offset1:10
	v_add_f32_e32 v3, v26, v21
	v_fma_f32 v4, -0.5, v3, v4
	v_sub_f32_e32 v6, v12, v21
	v_mov_b32_e32 v12, v4
	v_sub_f32_e32 v2, v37, v26
	v_fmac_f32_e32 v12, 0x3f737871, v53
	v_fmac_f32_e32 v4, 0xbf737871, v53
	v_add_f32_e32 v2, v2, v6
	v_fmac_f32_e32 v12, 0xbf167918, v51
	v_fmac_f32_e32 v4, 0x3f167918, v51
	;; [unrolled: 1-line block ×4, first 2 shown]
	v_add_f32_e32 v2, v27, v9
	v_fmac_f32_e32 v5, -0.5, v2
	v_sub_f32_e32 v3, v13, v9
	v_mov_b32_e32 v9, v5
	v_sub_f32_e32 v2, v38, v27
	v_fmac_f32_e32 v9, 0xbf737871, v58
	v_fmac_f32_e32 v5, 0x3f737871, v58
	v_add_f32_e32 v2, v2, v3
	v_fmac_f32_e32 v9, 0x3f167918, v56
	v_fmac_f32_e32 v5, 0xbf167918, v56
	;; [unrolled: 1-line block ×4, first 2 shown]
	v_add_f32_e32 v2, v28, v10
	v_fmac_f32_e32 v41, -0.5, v2
	v_sub_f32_e32 v2, v39, v28
	v_sub_f32_e32 v3, v14, v10
	v_add_f32_e32 v2, v2, v3
	v_mov_b32_e32 v3, v41
	v_fmac_f32_e32 v3, 0x3f737871, v44
	v_fmac_f32_e32 v41, 0xbf737871, v44
	;; [unrolled: 1-line block ×6, first 2 shown]
	v_add_f32_e32 v2, v36, v22
	v_fmac_f32_e32 v25, -0.5, v2
	v_sub_f32_e32 v2, v11, v36
	v_sub_f32_e32 v6, v8, v22
	v_add_f32_e32 v2, v2, v6
	v_mov_b32_e32 v6, v25
	v_fmac_f32_e32 v6, 0xbf737871, v47
	v_fmac_f32_e32 v25, 0x3f737871, v47
	;; [unrolled: 1-line block ×9, first 2 shown]
	v_mul_f32_e32 v8, 0xbf737871, v6
	v_mul_f32_e32 v10, 0x3e9e377a, v6
	v_mul_f32_e32 v11, 0xbf737871, v25
	v_mul_f32_e32 v13, 0xbe9e377a, v25
	v_fmac_f32_e32 v50, 0x3f737871, v51
	v_fmac_f32_e32 v55, 0xbf737871, v56
	;; [unrolled: 1-line block ×11, first 2 shown]
	v_mul_f32_e32 v14, 0xbf167918, v45
	v_mul_f32_e32 v22, 0xbf4f1bbd, v45
	v_add_f32_e32 v2, v12, v8
	v_add_f32_e32 v3, v9, v10
	;; [unrolled: 1-line block ×4, first 2 shown]
	v_fmac_f32_e32 v50, 0x3e9e377a, v23
	v_fmac_f32_e32 v55, 0x3e9e377a, v24
	;; [unrolled: 1-line block ×4, first 2 shown]
	ds_write2_b64 v15, v[2:3], v[6:7] offset0:20 offset1:30
	v_sub_f32_e32 v2, v40, v59
	v_sub_f32_e32 v3, v54, v60
	v_add_f32_e32 v6, v50, v14
	v_add_f32_e32 v7, v55, v22
	ds_write2_b64 v15, v[6:7], v[2:3] offset0:40 offset1:50
	v_sub_f32_e32 v3, v5, v13
	v_sub_f32_e32 v2, v4, v11
	;; [unrolled: 1-line block ×8, first 2 shown]
	ds_write2_b64 v15, v[4:5], v[6:7] offset0:60 offset1:70
	ds_write2_b64 v15, v[2:3], v[21:22] offset0:80 offset1:90
	s_waitcnt lgkmcnt(0)
	s_barrier
	ds_read_b64 v[29:30], v34
	ds_read2_b64 v[12:15], v1 offset0:44 offset1:134
	v_add_u32_e32 v1, 0x1400, v33
	ds_read2_b64 v[8:11], v0 offset0:96 offset1:216
	ds_read2_b64 v[4:7], v1 offset0:50 offset1:140
	;; [unrolled: 1-line block ×3, first 2 shown]
                                        ; implicit-def: $vgpr24
                                        ; implicit-def: $vgpr26
	s_and_saveexec_b64 s[2:3], vcc
	s_cbranch_execz .LBB0_21
; %bb.20:
	ds_read_b64 v[21:22], v33 offset:2160
	ds_read_b64 v[25:26], v33 offset:4560
	;; [unrolled: 1-line block ×3, first 2 shown]
.LBB0_21:
	s_or_b64 exec, exec, s[2:3]
	v_lshlrev_b32_e32 v38, 1, v20
	v_mov_b32_e32 v39, 0
	v_lshlrev_b64 v[27:28], 3, v[38:39]
	v_mov_b32_e32 v36, s13
	v_add_co_u32_e64 v27, s[2:3], s12, v27
	v_addc_co_u32_e64 v28, s[2:3], v36, v28, s[2:3]
	v_add_u32_e32 v37, 0x5a, v20
	v_add_u32_e32 v38, -10, v20
	v_cmp_gt_u32_e64 s[2:3], 10, v20
	v_cndmask_b32_e64 v56, v38, v37, s[2:3]
	v_lshlrev_b32_e32 v38, 1, v56
	v_lshlrev_b64 v[38:39], 3, v[38:39]
	global_load_dwordx4 v[40:43], v[27:28], off offset:720
	v_add_co_u32_e64 v38, s[2:3], s12, v38
	v_addc_co_u32_e64 v39, s[2:3], v36, v39, s[2:3]
	global_load_dwordx4 v[44:47], v[38:39], off offset:720
	v_add_u32_e32 v38, 0xb4, v20
	v_lshrrev_b16_e32 v39, 2, v38
	v_mul_u32_u24_e32 v39, 0x147b, v39
	v_lshrrev_b32_e32 v57, 17, v39
	v_add_u32_e32 v36, 0x10e, v20
	v_mul_lo_u16_e32 v39, 0x64, v57
	v_sub_u16_e32 v58, v38, v39
	v_lshrrev_b16_e32 v48, 2, v36
	v_lshlrev_b32_e32 v39, 4, v58
	v_mul_u32_u24_e32 v48, 0x147b, v48
	v_lshrrev_b32_e32 v52, 17, v48
	global_load_dwordx4 v[48:51], v39, s[12:13] offset:720
	v_mul_lo_u16_e32 v39, 0x64, v52
	v_sub_u16_e32 v39, v36, v39
	v_lshlrev_b32_e32 v52, 4, v39
	global_load_dwordx4 v[52:55], v52, s[12:13] offset:720
	s_waitcnt vmcnt(0) lgkmcnt(0)
	s_barrier
	v_cmp_lt_u32_e64 s[2:3], 9, v20
	s_movk_i32 s6, 0x960
	v_mul_f32_e32 v59, v41, v13
	v_mul_f32_e32 v41, v41, v12
	;; [unrolled: 1-line block ×4, first 2 shown]
	v_fmac_f32_e32 v59, v40, v12
	v_fma_f32 v12, v40, v13, -v41
	v_fmac_f32_e32 v60, v42, v10
	v_fma_f32 v10, v42, v11, -v43
	v_mul_f32_e32 v11, v45, v15
	v_mul_f32_e32 v40, v47, v5
	;; [unrolled: 1-line block ×4, first 2 shown]
	v_add_f32_e32 v42, v29, v59
	v_fmac_f32_e32 v11, v44, v14
	v_fmac_f32_e32 v40, v46, v4
	v_fma_f32 v41, v46, v5, -v41
	v_fma_f32 v13, v44, v15, -v13
	v_mul_f32_e32 v46, v49, v8
	v_mul_f32_e32 v44, v49, v9
	v_add_f32_e32 v4, v42, v60
	v_fma_f32 v42, v48, v9, -v46
	v_add_f32_e32 v9, v11, v40
	v_sub_f32_e32 v45, v12, v10
	v_add_f32_e32 v14, v30, v12
	v_add_f32_e32 v12, v12, v10
	v_fmac_f32_e32 v44, v48, v8
	v_add_f32_e32 v8, v0, v11
	v_fma_f32 v0, -0.5, v9, v0
	v_add_f32_e32 v5, v14, v10
	v_fmac_f32_e32 v30, -0.5, v12
	v_sub_f32_e32 v12, v13, v41
	v_mov_b32_e32 v10, v0
	v_mul_f32_e32 v47, v51, v7
	v_fmac_f32_e32 v0, 0x3f5db3d7, v12
	v_fmac_f32_e32 v10, 0xbf5db3d7, v12
	v_add_f32_e32 v12, v13, v41
	v_fmac_f32_e32 v47, v50, v6
	v_add_f32_e32 v9, v1, v13
	v_fma_f32 v1, -0.5, v12, v1
	v_mul_f32_e32 v49, v51, v6
	v_sub_f32_e32 v12, v11, v40
	v_mov_b32_e32 v11, v1
	v_add_f32_e32 v13, v44, v47
	v_add_f32_e32 v43, v59, v60
	v_sub_f32_e32 v15, v59, v60
	v_fma_f32 v46, v50, v7, -v49
	v_mov_b32_e32 v7, v30
	v_fmac_f32_e32 v11, 0x3f5db3d7, v12
	v_fmac_f32_e32 v1, 0xbf5db3d7, v12
	v_add_f32_e32 v12, v2, v44
	v_fma_f32 v2, -0.5, v13, v2
	v_mul_f32_e32 v51, v26, v53
	v_mul_f32_e32 v59, v24, v55
	v_fma_f32 v29, -0.5, v43, v29
	v_fmac_f32_e32 v30, 0xbf5db3d7, v15
	v_fmac_f32_e32 v7, 0x3f5db3d7, v15
	v_sub_f32_e32 v13, v42, v46
	v_mov_b32_e32 v14, v2
	v_add_f32_e32 v15, v42, v46
	v_mul_f32_e32 v43, v23, v55
	v_fmac_f32_e32 v51, v25, v52
	v_fmac_f32_e32 v59, v23, v54
	v_mov_b32_e32 v6, v29
	v_fmac_f32_e32 v14, 0xbf5db3d7, v13
	v_fmac_f32_e32 v2, 0x3f5db3d7, v13
	v_add_f32_e32 v13, v3, v42
	v_fmac_f32_e32 v3, -0.5, v15
	v_mul_f32_e32 v53, v25, v53
	v_fma_f32 v43, v24, v54, -v43
	v_fmac_f32_e32 v6, 0xbf5db3d7, v45
	v_sub_f32_e32 v23, v44, v47
	v_mov_b32_e32 v15, v3
	v_add_f32_e32 v24, v51, v59
	v_fma_f32 v26, v26, v52, -v53
	v_fmac_f32_e32 v29, 0x3f5db3d7, v45
	v_fmac_f32_e32 v15, 0x3f5db3d7, v23
	;; [unrolled: 1-line block ×3, first 2 shown]
	v_add_f32_e32 v23, v21, v51
	v_fmac_f32_e32 v21, -0.5, v24
	ds_write2_b64 v33, v[4:5], v[6:7] offset1:100
	ds_write_b64 v33, v[29:30] offset:1600
	v_mov_b32_e32 v4, 0x960
	v_sub_f32_e32 v24, v26, v43
	v_mov_b32_e32 v25, v21
	v_cndmask_b32_e64 v4, 0, v4, s[2:3]
	v_fmac_f32_e32 v25, 0xbf5db3d7, v24
	v_fmac_f32_e32 v21, 0x3f5db3d7, v24
	v_add_f32_e32 v24, v22, v26
	v_add_f32_e32 v26, v26, v43
	v_add_u32_e32 v4, 0, v4
	v_lshlrev_b32_e32 v5, 3, v56
	v_add_f32_e32 v8, v8, v40
	v_add_f32_e32 v9, v9, v41
	v_fmac_f32_e32 v22, -0.5, v26
	v_add3_u32 v4, v4, v5, v32
	v_sub_f32_e32 v40, v51, v59
	v_mov_b32_e32 v26, v22
	ds_write2_b64 v4, v[8:9], v[10:11] offset1:100
	ds_write_b64 v4, v[0:1] offset:1600
	v_mad_u32_u24 v0, v57, s6, 0
	v_lshlrev_b32_e32 v1, 3, v58
	v_add_f32_e32 v12, v12, v47
	v_add_f32_e32 v13, v13, v46
	;; [unrolled: 1-line block ×4, first 2 shown]
	v_fmac_f32_e32 v26, 0x3f5db3d7, v40
	v_fmac_f32_e32 v22, 0xbf5db3d7, v40
	v_add3_u32 v0, v0, v1, v32
	ds_write2_b64 v0, v[12:13], v[14:15] offset1:100
	ds_write_b64 v0, v[2:3] offset:1600
	s_and_saveexec_b64 s[2:3], vcc
	s_cbranch_execz .LBB0_23
; %bb.22:
	v_lshlrev_b32_e32 v0, 3, v39
	v_add3_u32 v0, 0, v0, v32
	v_add_u32_e32 v1, 0x1000, v0
	ds_write2_b64 v1, v[23:24], v[25:26] offset0:88 offset1:188
	ds_write_b64 v0, v[21:22] offset:6400
.LBB0_23:
	s_or_b64 exec, exec, s[2:3]
	v_add_u32_e32 v0, 0x800, v33
	s_waitcnt lgkmcnt(0)
	s_barrier
	ds_read2_b64 v[12:15], v0 offset0:44 offset1:134
	v_add_u32_e32 v0, 0xc00, v33
	v_add_u32_e32 v8, 0x1400, v33
	ds_read_b64 v[29:30], v34
	ds_read2_b64 v[4:7], v0 offset0:96 offset1:216
	ds_read2_b64 v[0:3], v33 offset0:90 offset1:180
	ds_read2_b64 v[8:11], v8 offset0:50 offset1:140
	v_mul_i32_i24_e32 v34, 0xffffffb8, v20
	s_and_saveexec_b64 s[2:3], vcc
	s_cbranch_execz .LBB0_25
; %bb.24:
	ds_read_b64 v[23:24], v33 offset:2160
	ds_read_b64 v[25:26], v33 offset:4560
	;; [unrolled: 1-line block ×3, first 2 shown]
.LBB0_25:
	s_or_b64 exec, exec, s[2:3]
	global_load_dwordx4 v[39:42], v[27:28], off offset:2320
	v_lshlrev_b32_e32 v27, 1, v37
	v_mov_b32_e32 v28, 0
	v_lshlrev_b64 v[43:44], 3, v[27:28]
	v_lshlrev_b32_e32 v27, 1, v38
	v_mov_b32_e32 v47, s13
	v_add_co_u32_e64 v43, s[2:3], s12, v43
	v_lshlrev_b64 v[37:38], 3, v[27:28]
	v_addc_co_u32_e64 v44, s[2:3], v47, v44, s[2:3]
	v_add_co_u32_e64 v37, s[2:3], s12, v37
	global_load_dwordx4 v[43:46], v[43:44], off offset:2320
	v_addc_co_u32_e64 v38, s[2:3], v47, v38, s[2:3]
	global_load_dwordx4 v[47:50], v[37:38], off offset:2320
	v_add3_u32 v27, v35, v34, v32
	s_waitcnt vmcnt(0) lgkmcnt(0)
	s_barrier
	v_mul_f32_e32 v32, v40, v13
	v_mul_f32_e32 v34, v40, v12
	;; [unrolled: 1-line block ×4, first 2 shown]
	v_fmac_f32_e32 v32, v39, v12
	v_fma_f32 v12, v39, v13, -v34
	v_fma_f32 v7, v41, v7, -v37
	v_fmac_f32_e32 v35, v41, v6
	v_add_f32_e32 v6, v29, v32
	v_sub_f32_e32 v34, v12, v7
	v_add_f32_e32 v37, v30, v12
	v_add_f32_e32 v12, v12, v7
	;; [unrolled: 1-line block ×3, first 2 shown]
	v_sub_f32_e32 v32, v32, v35
	v_add_f32_e32 v6, v6, v35
	v_add_f32_e32 v7, v37, v7
	v_fmac_f32_e32 v30, -0.5, v12
	v_mul_f32_e32 v35, v44, v15
	v_mul_f32_e32 v37, v44, v14
	;; [unrolled: 1-line block ×4, first 2 shown]
	v_fma_f32 v29, -0.5, v13, v29
	v_mov_b32_e32 v13, v30
	v_fmac_f32_e32 v35, v43, v14
	v_fma_f32 v14, v43, v15, -v37
	v_fmac_f32_e32 v38, v45, v8
	v_fma_f32 v8, v45, v9, -v39
	v_mul_f32_e32 v9, v48, v5
	v_mul_f32_e32 v15, v48, v4
	;; [unrolled: 1-line block ×4, first 2 shown]
	v_mov_b32_e32 v12, v29
	v_fmac_f32_e32 v30, 0xbf5db3d7, v32
	v_fmac_f32_e32 v13, 0x3f5db3d7, v32
	v_fmac_f32_e32 v9, v47, v4
	v_fma_f32 v15, v47, v5, -v15
	v_fmac_f32_e32 v37, v49, v10
	v_fma_f32 v10, v49, v11, -v39
	v_add_f32_e32 v5, v35, v38
	v_sub_f32_e32 v11, v14, v8
	v_add_f32_e32 v32, v1, v14
	v_add_f32_e32 v14, v14, v8
	v_fmac_f32_e32 v29, 0x3f5db3d7, v34
	v_fmac_f32_e32 v12, 0xbf5db3d7, v34
	v_add_f32_e32 v4, v0, v35
	v_sub_f32_e32 v34, v35, v38
	v_fma_f32 v35, -0.5, v5, v0
	v_add_f32_e32 v5, v32, v8
	v_fma_f32 v8, -0.5, v14, v1
	v_add_f32_e32 v1, v9, v37
	v_sub_f32_e32 v14, v15, v10
	v_add_f32_e32 v32, v3, v15
	v_add_f32_e32 v15, v15, v10
	;; [unrolled: 1-line block ×4, first 2 shown]
	v_mov_b32_e32 v38, v35
	v_mov_b32_e32 v39, v8
	v_fma_f32 v2, -0.5, v1, v2
	v_fmac_f32_e32 v3, -0.5, v15
	v_sub_f32_e32 v9, v9, v37
	v_fmac_f32_e32 v35, 0x3f5db3d7, v11
	v_fmac_f32_e32 v8, 0xbf5db3d7, v34
	v_add_f32_e32 v0, v0, v37
	v_add_f32_e32 v1, v32, v10
	v_fmac_f32_e32 v38, 0xbf5db3d7, v11
	v_fmac_f32_e32 v39, 0x3f5db3d7, v34
	v_mov_b32_e32 v10, v2
	v_mov_b32_e32 v11, v3
	ds_write_b64 v33, v[12:13] offset:2400
	ds_write_b64 v33, v[29:30] offset:4800
	ds_write2_b64 v33, v[6:7], v[4:5] offset1:90
	v_add_u32_e32 v4, 0xc00, v27
	v_add_u32_e32 v5, 0x1400, v27
	v_fmac_f32_e32 v2, 0x3f5db3d7, v14
	v_fmac_f32_e32 v3, 0xbf5db3d7, v9
	;; [unrolled: 1-line block ×4, first 2 shown]
	ds_write2_b32 v4, v38, v39 offset0:12 offset1:13
	ds_write2_b32 v5, v35, v8 offset0:100 offset1:101
	ds_write_b64 v33, v[0:1] offset:1440
	ds_write2_b32 v4, v10, v11 offset0:192 offset1:193
	v_add_u32_e32 v0, 0x1800, v27
	ds_write2_b32 v0, v2, v3 offset0:24 offset1:25
	s_and_saveexec_b64 s[2:3], vcc
	s_cbranch_execz .LBB0_27
; %bb.26:
	v_subrev_u32_e32 v0, 30, v20
	v_cndmask_b32_e32 v0, v0, v36, vcc
	v_lshlrev_b32_e32 v27, 1, v0
	v_lshlrev_b64 v[0:1], 3, v[27:28]
	v_mov_b32_e32 v2, s13
	v_add_co_u32_e32 v0, vcc, s12, v0
	v_addc_co_u32_e32 v1, vcc, v2, v1, vcc
	global_load_dwordx4 v[0:3], v[0:1], off offset:2320
	s_waitcnt vmcnt(0)
	v_mul_f32_e32 v4, v25, v1
	v_mul_f32_e32 v5, v21, v3
	;; [unrolled: 1-line block ×4, first 2 shown]
	v_fma_f32 v3, v26, v0, -v4
	v_fma_f32 v4, v22, v2, -v5
	v_fmac_f32_e32 v1, v25, v0
	v_fmac_f32_e32 v6, v21, v2
	v_add_f32_e32 v0, v3, v4
	v_add_f32_e32 v5, v1, v6
	v_sub_f32_e32 v7, v1, v6
	v_add_f32_e32 v2, v24, v3
	v_sub_f32_e32 v8, v3, v4
	v_add_f32_e32 v9, v23, v1
	v_fma_f32 v1, -0.5, v0, v24
	v_fma_f32 v0, -0.5, v5, v23
	v_add_f32_e32 v3, v2, v4
	v_add_f32_e32 v2, v9, v6
	v_mov_b32_e32 v5, v1
	v_fmac_f32_e32 v1, 0x3f5db3d7, v7
	v_mov_b32_e32 v4, v0
	v_fmac_f32_e32 v0, 0xbf5db3d7, v8
	ds_write_b64 v33, v[2:3] offset:2160
	v_fmac_f32_e32 v5, 0xbf5db3d7, v7
	v_fmac_f32_e32 v4, 0x3f5db3d7, v8
	ds_write_b64 v33, v[0:1] offset:4560
	ds_write_b64 v33, v[4:5] offset:6960
.LBB0_27:
	s_or_b64 exec, exec, s[2:3]
	s_waitcnt lgkmcnt(0)
	s_barrier
	s_and_saveexec_b64 s[2:3], s[0:1]
	s_cbranch_execz .LBB0_29
; %bb.28:
	v_mul_lo_u32 v0, s5, v18
	v_mul_lo_u32 v1, s4, v19
	v_mad_u64_u32 v[4:5], s[0:1], s4, v18, 0
	v_mov_b32_e32 v7, s11
	v_lshl_add_u32 v6, v20, 3, v31
	v_add3_u32 v5, v5, v1, v0
	v_lshlrev_b64 v[4:5], 3, v[4:5]
	v_mov_b32_e32 v21, 0
	v_add_co_u32_e32 v8, vcc, s10, v4
	v_addc_co_u32_e32 v7, vcc, v7, v5, vcc
	v_lshlrev_b64 v[4:5], 3, v[16:17]
	ds_read2_b64 v[0:3], v6 offset1:90
	v_add_co_u32_e32 v8, vcc, v8, v4
	v_addc_co_u32_e32 v7, vcc, v7, v5, vcc
	v_lshlrev_b64 v[4:5], 3, v[20:21]
	v_add_co_u32_e32 v4, vcc, v8, v4
	v_addc_co_u32_e32 v5, vcc, v7, v5, vcc
	s_waitcnt lgkmcnt(0)
	global_store_dwordx2 v[4:5], v[0:1], off
	v_add_u32_e32 v0, 0x5a, v20
	v_mov_b32_e32 v1, v21
	v_lshlrev_b64 v[0:1], 3, v[0:1]
	v_add_u32_e32 v4, 0xb4, v20
	v_add_co_u32_e32 v0, vcc, v8, v0
	v_addc_co_u32_e32 v1, vcc, v7, v1, vcc
	global_store_dwordx2 v[0:1], v[2:3], off
	v_add_u32_e32 v0, 0x400, v6
	v_mov_b32_e32 v5, v21
	ds_read2_b64 v[0:3], v0 offset0:52 offset1:142
	v_lshlrev_b64 v[4:5], 3, v[4:5]
	v_add_co_u32_e32 v4, vcc, v8, v4
	v_addc_co_u32_e32 v5, vcc, v7, v5, vcc
	s_waitcnt lgkmcnt(0)
	global_store_dwordx2 v[4:5], v[0:1], off
	v_add_u32_e32 v0, 0x10e, v20
	v_mov_b32_e32 v1, v21
	v_lshlrev_b64 v[0:1], 3, v[0:1]
	v_add_u32_e32 v4, 0x168, v20
	v_add_co_u32_e32 v0, vcc, v8, v0
	v_addc_co_u32_e32 v1, vcc, v7, v1, vcc
	global_store_dwordx2 v[0:1], v[2:3], off
	v_add_u32_e32 v0, 0x800, v6
	v_mov_b32_e32 v5, v21
	ds_read2_b64 v[0:3], v0 offset0:104 offset1:194
	;; [unrolled: 15-line block ×4, first 2 shown]
	v_lshlrev_b64 v[4:5], 3, v[4:5]
	v_add_u32_e32 v20, 0x32a, v20
	v_add_co_u32_e32 v4, vcc, v8, v4
	v_addc_co_u32_e32 v5, vcc, v7, v5, vcc
	s_waitcnt lgkmcnt(0)
	global_store_dwordx2 v[4:5], v[0:1], off
	v_lshlrev_b64 v[0:1], 3, v[20:21]
	v_add_co_u32_e32 v0, vcc, v8, v0
	v_addc_co_u32_e32 v1, vcc, v7, v1, vcc
	global_store_dwordx2 v[0:1], v[2:3], off
.LBB0_29:
	s_endpgm
	.section	.rodata,"a",@progbits
	.p2align	6, 0x0
	.amdhsa_kernel fft_rtc_back_len900_factors_10_10_3_3_wgs_180_tpt_90_halfLds_sp_op_CI_CI_unitstride_sbrr_C2R_dirReg
		.amdhsa_group_segment_fixed_size 0
		.amdhsa_private_segment_fixed_size 0
		.amdhsa_kernarg_size 104
		.amdhsa_user_sgpr_count 6
		.amdhsa_user_sgpr_private_segment_buffer 1
		.amdhsa_user_sgpr_dispatch_ptr 0
		.amdhsa_user_sgpr_queue_ptr 0
		.amdhsa_user_sgpr_kernarg_segment_ptr 1
		.amdhsa_user_sgpr_dispatch_id 0
		.amdhsa_user_sgpr_flat_scratch_init 0
		.amdhsa_user_sgpr_private_segment_size 0
		.amdhsa_uses_dynamic_stack 0
		.amdhsa_system_sgpr_private_segment_wavefront_offset 0
		.amdhsa_system_sgpr_workgroup_id_x 1
		.amdhsa_system_sgpr_workgroup_id_y 0
		.amdhsa_system_sgpr_workgroup_id_z 0
		.amdhsa_system_sgpr_workgroup_info 0
		.amdhsa_system_vgpr_workitem_id 0
		.amdhsa_next_free_vgpr 61
		.amdhsa_next_free_sgpr 28
		.amdhsa_reserve_vcc 1
		.amdhsa_reserve_flat_scratch 0
		.amdhsa_float_round_mode_32 0
		.amdhsa_float_round_mode_16_64 0
		.amdhsa_float_denorm_mode_32 3
		.amdhsa_float_denorm_mode_16_64 3
		.amdhsa_dx10_clamp 1
		.amdhsa_ieee_mode 1
		.amdhsa_fp16_overflow 0
		.amdhsa_exception_fp_ieee_invalid_op 0
		.amdhsa_exception_fp_denorm_src 0
		.amdhsa_exception_fp_ieee_div_zero 0
		.amdhsa_exception_fp_ieee_overflow 0
		.amdhsa_exception_fp_ieee_underflow 0
		.amdhsa_exception_fp_ieee_inexact 0
		.amdhsa_exception_int_div_zero 0
	.end_amdhsa_kernel
	.text
.Lfunc_end0:
	.size	fft_rtc_back_len900_factors_10_10_3_3_wgs_180_tpt_90_halfLds_sp_op_CI_CI_unitstride_sbrr_C2R_dirReg, .Lfunc_end0-fft_rtc_back_len900_factors_10_10_3_3_wgs_180_tpt_90_halfLds_sp_op_CI_CI_unitstride_sbrr_C2R_dirReg
                                        ; -- End function
	.section	.AMDGPU.csdata,"",@progbits
; Kernel info:
; codeLenInByte = 7136
; NumSgprs: 32
; NumVgprs: 61
; ScratchSize: 0
; MemoryBound: 0
; FloatMode: 240
; IeeeMode: 1
; LDSByteSize: 0 bytes/workgroup (compile time only)
; SGPRBlocks: 3
; VGPRBlocks: 15
; NumSGPRsForWavesPerEU: 32
; NumVGPRsForWavesPerEU: 61
; Occupancy: 4
; WaveLimiterHint : 1
; COMPUTE_PGM_RSRC2:SCRATCH_EN: 0
; COMPUTE_PGM_RSRC2:USER_SGPR: 6
; COMPUTE_PGM_RSRC2:TRAP_HANDLER: 0
; COMPUTE_PGM_RSRC2:TGID_X_EN: 1
; COMPUTE_PGM_RSRC2:TGID_Y_EN: 0
; COMPUTE_PGM_RSRC2:TGID_Z_EN: 0
; COMPUTE_PGM_RSRC2:TIDIG_COMP_CNT: 0
	.type	__hip_cuid_20e62ac6d3ec568,@object ; @__hip_cuid_20e62ac6d3ec568
	.section	.bss,"aw",@nobits
	.globl	__hip_cuid_20e62ac6d3ec568
__hip_cuid_20e62ac6d3ec568:
	.byte	0                               ; 0x0
	.size	__hip_cuid_20e62ac6d3ec568, 1

	.ident	"AMD clang version 19.0.0git (https://github.com/RadeonOpenCompute/llvm-project roc-6.4.0 25133 c7fe45cf4b819c5991fe208aaa96edf142730f1d)"
	.section	".note.GNU-stack","",@progbits
	.addrsig
	.addrsig_sym __hip_cuid_20e62ac6d3ec568
	.amdgpu_metadata
---
amdhsa.kernels:
  - .args:
      - .actual_access:  read_only
        .address_space:  global
        .offset:         0
        .size:           8
        .value_kind:     global_buffer
      - .offset:         8
        .size:           8
        .value_kind:     by_value
      - .actual_access:  read_only
        .address_space:  global
        .offset:         16
        .size:           8
        .value_kind:     global_buffer
      - .actual_access:  read_only
        .address_space:  global
        .offset:         24
        .size:           8
        .value_kind:     global_buffer
      - .actual_access:  read_only
        .address_space:  global
        .offset:         32
        .size:           8
        .value_kind:     global_buffer
      - .offset:         40
        .size:           8
        .value_kind:     by_value
      - .actual_access:  read_only
        .address_space:  global
        .offset:         48
        .size:           8
        .value_kind:     global_buffer
      - .actual_access:  read_only
        .address_space:  global
        .offset:         56
        .size:           8
        .value_kind:     global_buffer
      - .offset:         64
        .size:           4
        .value_kind:     by_value
      - .actual_access:  read_only
        .address_space:  global
        .offset:         72
        .size:           8
        .value_kind:     global_buffer
      - .actual_access:  read_only
        .address_space:  global
        .offset:         80
        .size:           8
        .value_kind:     global_buffer
      - .actual_access:  read_only
        .address_space:  global
        .offset:         88
        .size:           8
        .value_kind:     global_buffer
      - .actual_access:  write_only
        .address_space:  global
        .offset:         96
        .size:           8
        .value_kind:     global_buffer
    .group_segment_fixed_size: 0
    .kernarg_segment_align: 8
    .kernarg_segment_size: 104
    .language:       OpenCL C
    .language_version:
      - 2
      - 0
    .max_flat_workgroup_size: 180
    .name:           fft_rtc_back_len900_factors_10_10_3_3_wgs_180_tpt_90_halfLds_sp_op_CI_CI_unitstride_sbrr_C2R_dirReg
    .private_segment_fixed_size: 0
    .sgpr_count:     32
    .sgpr_spill_count: 0
    .symbol:         fft_rtc_back_len900_factors_10_10_3_3_wgs_180_tpt_90_halfLds_sp_op_CI_CI_unitstride_sbrr_C2R_dirReg.kd
    .uniform_work_group_size: 1
    .uses_dynamic_stack: false
    .vgpr_count:     61
    .vgpr_spill_count: 0
    .wavefront_size: 64
amdhsa.target:   amdgcn-amd-amdhsa--gfx906
amdhsa.version:
  - 1
  - 2
...

	.end_amdgpu_metadata
